;; amdgpu-corpus repo=ROCm/rocFFT kind=compiled arch=gfx1030 opt=O3
	.text
	.amdgcn_target "amdgcn-amd-amdhsa--gfx1030"
	.amdhsa_code_object_version 6
	.protected	fft_rtc_back_len1936_factors_2_2_4_11_11_wgs_176_tpt_176_dp_ip_CI_unitstride_sbrr_C2R_dirReg ; -- Begin function fft_rtc_back_len1936_factors_2_2_4_11_11_wgs_176_tpt_176_dp_ip_CI_unitstride_sbrr_C2R_dirReg
	.globl	fft_rtc_back_len1936_factors_2_2_4_11_11_wgs_176_tpt_176_dp_ip_CI_unitstride_sbrr_C2R_dirReg
	.p2align	8
	.type	fft_rtc_back_len1936_factors_2_2_4_11_11_wgs_176_tpt_176_dp_ip_CI_unitstride_sbrr_C2R_dirReg,@function
fft_rtc_back_len1936_factors_2_2_4_11_11_wgs_176_tpt_176_dp_ip_CI_unitstride_sbrr_C2R_dirReg: ; @fft_rtc_back_len1936_factors_2_2_4_11_11_wgs_176_tpt_176_dp_ip_CI_unitstride_sbrr_C2R_dirReg
; %bb.0:
	s_clause 0x2
	s_load_dwordx4 s[8:11], s[4:5], 0x0
	s_load_dwordx2 s[2:3], s[4:5], 0x50
	s_load_dwordx2 s[12:13], s[4:5], 0x18
	v_mul_u32_u24_e32 v1, 0x175, v0
	v_mov_b32_e32 v3, 0
	v_add_nc_u32_sdwa v5, s6, v1 dst_sel:DWORD dst_unused:UNUSED_PAD src0_sel:DWORD src1_sel:WORD_1
	v_mov_b32_e32 v1, 0
	v_mov_b32_e32 v6, v3
	v_mov_b32_e32 v2, 0
	s_waitcnt lgkmcnt(0)
	v_cmp_lt_u64_e64 s0, s[10:11], 2
	s_and_b32 vcc_lo, exec_lo, s0
	s_cbranch_vccnz .LBB0_8
; %bb.1:
	s_load_dwordx2 s[0:1], s[4:5], 0x10
	v_mov_b32_e32 v1, 0
	s_add_u32 s6, s12, 8
	v_mov_b32_e32 v2, 0
	s_addc_u32 s7, s13, 0
	s_mov_b64 s[16:17], 1
	s_waitcnt lgkmcnt(0)
	s_add_u32 s14, s0, 8
	s_addc_u32 s15, s1, 0
.LBB0_2:                                ; =>This Inner Loop Header: Depth=1
	s_load_dwordx2 s[18:19], s[14:15], 0x0
                                        ; implicit-def: $vgpr7_vgpr8
	s_mov_b32 s0, exec_lo
	s_waitcnt lgkmcnt(0)
	v_or_b32_e32 v4, s19, v6
	v_cmpx_ne_u64_e32 0, v[3:4]
	s_xor_b32 s1, exec_lo, s0
	s_cbranch_execz .LBB0_4
; %bb.3:                                ;   in Loop: Header=BB0_2 Depth=1
	v_cvt_f32_u32_e32 v4, s18
	v_cvt_f32_u32_e32 v7, s19
	s_sub_u32 s0, 0, s18
	s_subb_u32 s20, 0, s19
	v_fmac_f32_e32 v4, 0x4f800000, v7
	v_rcp_f32_e32 v4, v4
	v_mul_f32_e32 v4, 0x5f7ffffc, v4
	v_mul_f32_e32 v7, 0x2f800000, v4
	v_trunc_f32_e32 v7, v7
	v_fmac_f32_e32 v4, 0xcf800000, v7
	v_cvt_u32_f32_e32 v7, v7
	v_cvt_u32_f32_e32 v4, v4
	v_mul_lo_u32 v8, s0, v7
	v_mul_hi_u32 v9, s0, v4
	v_mul_lo_u32 v10, s20, v4
	v_add_nc_u32_e32 v8, v9, v8
	v_mul_lo_u32 v9, s0, v4
	v_add_nc_u32_e32 v8, v8, v10
	v_mul_hi_u32 v10, v4, v9
	v_mul_lo_u32 v11, v4, v8
	v_mul_hi_u32 v12, v4, v8
	v_mul_hi_u32 v13, v7, v9
	v_mul_lo_u32 v9, v7, v9
	v_mul_hi_u32 v14, v7, v8
	v_mul_lo_u32 v8, v7, v8
	v_add_co_u32 v10, vcc_lo, v10, v11
	v_add_co_ci_u32_e32 v11, vcc_lo, 0, v12, vcc_lo
	v_add_co_u32 v9, vcc_lo, v10, v9
	v_add_co_ci_u32_e32 v9, vcc_lo, v11, v13, vcc_lo
	v_add_co_ci_u32_e32 v10, vcc_lo, 0, v14, vcc_lo
	v_add_co_u32 v8, vcc_lo, v9, v8
	v_add_co_ci_u32_e32 v9, vcc_lo, 0, v10, vcc_lo
	v_add_co_u32 v4, vcc_lo, v4, v8
	v_add_co_ci_u32_e32 v7, vcc_lo, v7, v9, vcc_lo
	v_mul_hi_u32 v8, s0, v4
	v_mul_lo_u32 v10, s20, v4
	v_mul_lo_u32 v9, s0, v7
	v_add_nc_u32_e32 v8, v8, v9
	v_mul_lo_u32 v9, s0, v4
	v_add_nc_u32_e32 v8, v8, v10
	v_mul_hi_u32 v10, v4, v9
	v_mul_lo_u32 v11, v4, v8
	v_mul_hi_u32 v12, v4, v8
	v_mul_hi_u32 v13, v7, v9
	v_mul_lo_u32 v9, v7, v9
	v_mul_hi_u32 v14, v7, v8
	v_mul_lo_u32 v8, v7, v8
	v_add_co_u32 v10, vcc_lo, v10, v11
	v_add_co_ci_u32_e32 v11, vcc_lo, 0, v12, vcc_lo
	v_add_co_u32 v9, vcc_lo, v10, v9
	v_add_co_ci_u32_e32 v9, vcc_lo, v11, v13, vcc_lo
	v_add_co_ci_u32_e32 v10, vcc_lo, 0, v14, vcc_lo
	v_add_co_u32 v8, vcc_lo, v9, v8
	v_add_co_ci_u32_e32 v9, vcc_lo, 0, v10, vcc_lo
	v_add_co_u32 v4, vcc_lo, v4, v8
	v_add_co_ci_u32_e32 v11, vcc_lo, v7, v9, vcc_lo
	v_mul_hi_u32 v13, v5, v4
	v_mad_u64_u32 v[9:10], null, v6, v4, 0
	v_mad_u64_u32 v[7:8], null, v5, v11, 0
	;; [unrolled: 1-line block ×3, first 2 shown]
	v_add_co_u32 v4, vcc_lo, v13, v7
	v_add_co_ci_u32_e32 v7, vcc_lo, 0, v8, vcc_lo
	v_add_co_u32 v4, vcc_lo, v4, v9
	v_add_co_ci_u32_e32 v4, vcc_lo, v7, v10, vcc_lo
	v_add_co_ci_u32_e32 v7, vcc_lo, 0, v12, vcc_lo
	v_add_co_u32 v4, vcc_lo, v4, v11
	v_add_co_ci_u32_e32 v9, vcc_lo, 0, v7, vcc_lo
	v_mul_lo_u32 v10, s19, v4
	v_mad_u64_u32 v[7:8], null, s18, v4, 0
	v_mul_lo_u32 v11, s18, v9
	v_sub_co_u32 v7, vcc_lo, v5, v7
	v_add3_u32 v8, v8, v11, v10
	v_sub_nc_u32_e32 v10, v6, v8
	v_subrev_co_ci_u32_e64 v10, s0, s19, v10, vcc_lo
	v_add_co_u32 v11, s0, v4, 2
	v_add_co_ci_u32_e64 v12, s0, 0, v9, s0
	v_sub_co_u32 v13, s0, v7, s18
	v_sub_co_ci_u32_e32 v8, vcc_lo, v6, v8, vcc_lo
	v_subrev_co_ci_u32_e64 v10, s0, 0, v10, s0
	v_cmp_le_u32_e32 vcc_lo, s18, v13
	v_cmp_eq_u32_e64 s0, s19, v8
	v_cndmask_b32_e64 v13, 0, -1, vcc_lo
	v_cmp_le_u32_e32 vcc_lo, s19, v10
	v_cndmask_b32_e64 v14, 0, -1, vcc_lo
	v_cmp_le_u32_e32 vcc_lo, s18, v7
	;; [unrolled: 2-line block ×3, first 2 shown]
	v_cndmask_b32_e64 v15, 0, -1, vcc_lo
	v_cmp_eq_u32_e32 vcc_lo, s19, v10
	v_cndmask_b32_e64 v7, v15, v7, s0
	v_cndmask_b32_e32 v10, v14, v13, vcc_lo
	v_add_co_u32 v13, vcc_lo, v4, 1
	v_add_co_ci_u32_e32 v14, vcc_lo, 0, v9, vcc_lo
	v_cmp_ne_u32_e32 vcc_lo, 0, v10
	v_cndmask_b32_e32 v8, v14, v12, vcc_lo
	v_cndmask_b32_e32 v10, v13, v11, vcc_lo
	v_cmp_ne_u32_e32 vcc_lo, 0, v7
	v_cndmask_b32_e32 v8, v9, v8, vcc_lo
	v_cndmask_b32_e32 v7, v4, v10, vcc_lo
.LBB0_4:                                ;   in Loop: Header=BB0_2 Depth=1
	s_andn2_saveexec_b32 s0, s1
	s_cbranch_execz .LBB0_6
; %bb.5:                                ;   in Loop: Header=BB0_2 Depth=1
	v_cvt_f32_u32_e32 v4, s18
	s_sub_i32 s1, 0, s18
	v_rcp_iflag_f32_e32 v4, v4
	v_mul_f32_e32 v4, 0x4f7ffffe, v4
	v_cvt_u32_f32_e32 v4, v4
	v_mul_lo_u32 v7, s1, v4
	v_mul_hi_u32 v7, v4, v7
	v_add_nc_u32_e32 v4, v4, v7
	v_mul_hi_u32 v4, v5, v4
	v_mul_lo_u32 v7, v4, s18
	v_add_nc_u32_e32 v8, 1, v4
	v_sub_nc_u32_e32 v7, v5, v7
	v_subrev_nc_u32_e32 v9, s18, v7
	v_cmp_le_u32_e32 vcc_lo, s18, v7
	v_cndmask_b32_e32 v7, v7, v9, vcc_lo
	v_cndmask_b32_e32 v4, v4, v8, vcc_lo
	v_cmp_le_u32_e32 vcc_lo, s18, v7
	v_add_nc_u32_e32 v8, 1, v4
	v_cndmask_b32_e32 v7, v4, v8, vcc_lo
	v_mov_b32_e32 v8, v3
.LBB0_6:                                ;   in Loop: Header=BB0_2 Depth=1
	s_or_b32 exec_lo, exec_lo, s0
	s_load_dwordx2 s[0:1], s[6:7], 0x0
	v_mul_lo_u32 v4, v8, s18
	v_mul_lo_u32 v11, v7, s19
	v_mad_u64_u32 v[9:10], null, v7, s18, 0
	s_add_u32 s16, s16, 1
	s_addc_u32 s17, s17, 0
	s_add_u32 s6, s6, 8
	s_addc_u32 s7, s7, 0
	;; [unrolled: 2-line block ×3, first 2 shown]
	v_add3_u32 v4, v10, v11, v4
	v_sub_co_u32 v5, vcc_lo, v5, v9
	v_sub_co_ci_u32_e32 v4, vcc_lo, v6, v4, vcc_lo
	s_waitcnt lgkmcnt(0)
	v_mul_lo_u32 v6, s1, v5
	v_mul_lo_u32 v4, s0, v4
	v_mad_u64_u32 v[1:2], null, s0, v5, v[1:2]
	v_cmp_ge_u64_e64 s0, s[16:17], s[10:11]
	s_and_b32 vcc_lo, exec_lo, s0
	v_add3_u32 v2, v6, v2, v4
	s_cbranch_vccnz .LBB0_9
; %bb.7:                                ;   in Loop: Header=BB0_2 Depth=1
	v_mov_b32_e32 v5, v7
	v_mov_b32_e32 v6, v8
	s_branch .LBB0_2
.LBB0_8:
	v_mov_b32_e32 v8, v6
	v_mov_b32_e32 v7, v5
.LBB0_9:
	s_lshl_b64 s[0:1], s[10:11], 3
	v_mul_hi_u32 v5, 0x1745d18, v0
	s_add_u32 s0, s12, s0
	s_addc_u32 s1, s13, s1
	s_load_dwordx2 s[0:1], s[0:1], 0x0
	s_load_dwordx2 s[4:5], s[4:5], 0x20
	s_waitcnt lgkmcnt(0)
	v_mul_lo_u32 v3, s0, v8
	v_mul_lo_u32 v4, s1, v7
	v_mad_u64_u32 v[1:2], null, s0, v7, v[1:2]
	v_cmp_gt_u64_e32 vcc_lo, s[4:5], v[7:8]
	v_add3_u32 v2, v4, v2, v3
	v_mul_u32_u24_e32 v3, 0xb0, v5
	v_lshlrev_b64 v[86:87], 4, v[1:2]
	v_sub_nc_u32_e32 v84, v0, v3
	s_and_saveexec_b32 s1, vcc_lo
	s_cbranch_execz .LBB0_13
; %bb.10:
	v_mov_b32_e32 v85, 0
	v_add_co_u32 v0, s0, s2, v86
	v_add_co_ci_u32_e64 v1, s0, s3, v87, s0
	v_lshlrev_b64 v[2:3], 4, v[84:85]
	v_lshl_add_u32 v46, v84, 4, 0
	s_mov_b32 s4, exec_lo
	v_add_co_u32 v26, s0, v0, v2
	v_add_co_ci_u32_e64 v27, s0, v1, v3, s0
	v_add_co_u32 v6, s0, 0x800, v26
	v_add_co_ci_u32_e64 v7, s0, 0, v27, s0
	;; [unrolled: 2-line block ×11, first 2 shown]
	s_clause 0xa
	global_load_dwordx4 v[2:5], v[26:27], off
	global_load_dwordx4 v[6:9], v[6:7], off offset:768
	global_load_dwordx4 v[10:13], v[10:11], off offset:1536
	;; [unrolled: 1-line block ×7, first 2 shown]
	global_load_dwordx4 v[34:37], v[34:35], off
	global_load_dwordx4 v[38:41], v[38:39], off offset:768
	global_load_dwordx4 v[42:45], v[42:43], off offset:1536
	s_waitcnt vmcnt(10)
	ds_write_b128 v46, v[2:5]
	s_waitcnt vmcnt(9)
	ds_write_b128 v46, v[6:9] offset:2816
	s_waitcnt vmcnt(8)
	ds_write_b128 v46, v[10:13] offset:5632
	;; [unrolled: 2-line block ×10, first 2 shown]
	v_cmpx_eq_u32_e32 0xaf, v84
	s_cbranch_execz .LBB0_12
; %bb.11:
	v_add_co_u32 v0, s0, 0x7800, v0
	v_add_co_ci_u32_e64 v1, s0, 0, v1, s0
	v_mov_b32_e32 v84, 0xaf
	global_load_dwordx4 v[0:3], v[0:1], off offset:256
	s_waitcnt vmcnt(0)
	ds_write_b128 v85, v[0:3] offset:30976
.LBB0_12:
	s_or_b32 exec_lo, exec_lo, s4
.LBB0_13:
	s_or_b32 exec_lo, exec_lo, s1
	v_lshlrev_b32_e32 v53, 4, v84
	s_waitcnt lgkmcnt(0)
	s_barrier
	buffer_gl0_inv
	s_add_u32 s1, s8, 0x78e0
	v_add_nc_u32_e32 v88, 0, v53
	v_sub_nc_u32_e32 v8, 0, v53
	s_addc_u32 s4, s9, 0
	s_mov_b32 s5, exec_lo
	ds_read_b64 v[4:5], v88
	ds_read_b64 v[6:7], v8 offset:30976
	s_waitcnt lgkmcnt(0)
	v_add_f64 v[0:1], v[4:5], v[6:7]
	v_add_f64 v[2:3], v[4:5], -v[6:7]
	v_cmpx_ne_u32_e32 0, v84
	s_xor_b32 s5, exec_lo, s5
	s_cbranch_execz .LBB0_15
; %bb.14:
	v_mov_b32_e32 v85, 0
	v_add_f64 v[13:14], v[4:5], v[6:7]
	v_add_f64 v[15:16], v[4:5], -v[6:7]
	v_lshlrev_b64 v[0:1], 4, v[84:85]
	v_add_co_u32 v0, s0, s1, v0
	v_add_co_ci_u32_e64 v1, s0, s4, v1, s0
	global_load_dwordx4 v[9:12], v[0:1], off
	ds_read_b64 v[0:1], v8 offset:30984
	ds_read_b64 v[2:3], v88 offset:8
	s_waitcnt lgkmcnt(0)
	v_add_f64 v[4:5], v[0:1], v[2:3]
	v_add_f64 v[0:1], v[2:3], -v[0:1]
	s_waitcnt vmcnt(0)
	v_fma_f64 v[2:3], v[15:16], v[11:12], v[13:14]
	v_fma_f64 v[6:7], -v[15:16], v[11:12], v[13:14]
	v_fma_f64 v[13:14], v[4:5], v[11:12], -v[0:1]
	v_fma_f64 v[11:12], v[4:5], v[11:12], v[0:1]
	v_fma_f64 v[0:1], -v[4:5], v[9:10], v[2:3]
	v_fma_f64 v[4:5], v[4:5], v[9:10], v[6:7]
	v_fma_f64 v[6:7], v[15:16], v[9:10], v[13:14]
	;; [unrolled: 1-line block ×3, first 2 shown]
	ds_write_b128 v8, v[4:7] offset:30976
.LBB0_15:
	s_andn2_saveexec_b32 s0, s5
	s_cbranch_execz .LBB0_17
; %bb.16:
	v_mov_b32_e32 v9, 0
	ds_read_b128 v[4:7], v9 offset:15488
	s_waitcnt lgkmcnt(0)
	v_add_f64 v[4:5], v[4:5], v[4:5]
	v_mul_f64 v[6:7], v[6:7], -2.0
	ds_write_b128 v9, v[4:7] offset:15488
.LBB0_17:
	s_or_b32 exec_lo, exec_lo, s0
	v_add_nc_u32_e32 v62, 0xb0, v84
	v_mov_b32_e32 v63, 0
	v_add_nc_u32_e32 v60, 0x160, v84
	v_add_nc_u32_e32 v50, 0x210, v84
	ds_write_b128 v88, v[0:3]
	v_add_nc_u32_e32 v48, 0x370, v84
	v_lshlrev_b64 v[4:5], 4, v[62:63]
	v_mov_b32_e32 v61, v63
	v_mov_b32_e32 v51, v63
	;; [unrolled: 1-line block ×3, first 2 shown]
	v_lshlrev_b64 v[9:10], 4, v[60:61]
	v_add_co_u32 v4, s0, s1, v4
	v_add_co_ci_u32_e64 v5, s0, s4, v5, s0
	v_lshlrev_b64 v[13:14], 4, v[50:51]
	v_add_co_u32 v9, s0, s1, v9
	global_load_dwordx4 v[4:7], v[4:5], off
	v_add_co_ci_u32_e64 v10, s0, s4, v10, s0
	v_add_co_u32 v13, s0, s1, v13
	v_add_co_ci_u32_e64 v14, s0, s4, v14, s0
	global_load_dwordx4 v[9:12], v[9:10], off
	v_add_nc_u32_e32 v51, 0x2c0, v84
	global_load_dwordx4 v[13:16], v[13:14], off
	v_lshlrev_b64 v[17:18], 4, v[51:52]
	v_add_co_u32 v21, s0, s1, v17
	v_add_co_ci_u32_e64 v22, s0, s4, v18, s0
	ds_read_b128 v[0:3], v88 offset:2816
	ds_read_b128 v[17:20], v8 offset:28160
	v_cmp_gt_u32_e64 s0, 0x58, v84
	global_load_dwordx4 v[21:24], v[21:22], off
	s_waitcnt lgkmcnt(0)
	v_add_f64 v[25:26], v[0:1], v[17:18]
	v_add_f64 v[27:28], v[19:20], v[2:3]
	v_add_f64 v[29:30], v[0:1], -v[17:18]
	v_add_f64 v[0:1], v[2:3], -v[19:20]
	s_waitcnt vmcnt(3)
	v_fma_f64 v[2:3], v[29:30], v[6:7], v[25:26]
	v_fma_f64 v[17:18], v[27:28], v[6:7], v[0:1]
	v_fma_f64 v[19:20], -v[29:30], v[6:7], v[25:26]
	v_fma_f64 v[6:7], v[27:28], v[6:7], -v[0:1]
	v_fma_f64 v[0:1], -v[27:28], v[4:5], v[2:3]
	v_fma_f64 v[2:3], v[29:30], v[4:5], v[17:18]
	v_fma_f64 v[17:18], v[27:28], v[4:5], v[19:20]
	v_fma_f64 v[19:20], v[29:30], v[4:5], v[6:7]
	ds_write_b128 v88, v[0:3] offset:2816
	ds_write_b128 v8, v[17:20] offset:28160
	ds_read_b128 v[0:3], v88 offset:5632
	ds_read_b128 v[4:7], v8 offset:25344
	s_waitcnt lgkmcnt(0)
	v_add_f64 v[17:18], v[0:1], v[4:5]
	v_add_f64 v[19:20], v[6:7], v[2:3]
	v_add_f64 v[25:26], v[0:1], -v[4:5]
	v_add_f64 v[0:1], v[2:3], -v[6:7]
	s_waitcnt vmcnt(2)
	v_fma_f64 v[2:3], v[25:26], v[11:12], v[17:18]
	v_fma_f64 v[4:5], v[19:20], v[11:12], v[0:1]
	v_fma_f64 v[6:7], -v[25:26], v[11:12], v[17:18]
	v_fma_f64 v[11:12], v[19:20], v[11:12], -v[0:1]
	v_fma_f64 v[0:1], -v[19:20], v[9:10], v[2:3]
	v_fma_f64 v[2:3], v[25:26], v[9:10], v[4:5]
	v_fma_f64 v[4:5], v[19:20], v[9:10], v[6:7]
	v_fma_f64 v[6:7], v[25:26], v[9:10], v[11:12]
	ds_write_b128 v88, v[0:3] offset:5632
	ds_write_b128 v8, v[4:7] offset:25344
	ds_read_b128 v[0:3], v88 offset:8448
	ds_read_b128 v[4:7], v8 offset:22528
	;; [unrolled: 18-line block ×3, first 2 shown]
	s_waitcnt lgkmcnt(0)
	v_add_f64 v[9:10], v[0:1], v[4:5]
	v_add_f64 v[11:12], v[6:7], v[2:3]
	v_add_f64 v[13:14], v[0:1], -v[4:5]
	v_add_f64 v[0:1], v[2:3], -v[6:7]
	s_waitcnt vmcnt(0)
	v_fma_f64 v[2:3], v[13:14], v[23:24], v[9:10]
	v_fma_f64 v[4:5], v[11:12], v[23:24], v[0:1]
	v_fma_f64 v[6:7], -v[13:14], v[23:24], v[9:10]
	v_fma_f64 v[9:10], v[11:12], v[23:24], -v[0:1]
	v_fma_f64 v[0:1], -v[11:12], v[21:22], v[2:3]
	v_fma_f64 v[2:3], v[13:14], v[21:22], v[4:5]
	v_fma_f64 v[4:5], v[11:12], v[21:22], v[6:7]
	;; [unrolled: 1-line block ×3, first 2 shown]
	ds_write_b128 v88, v[0:3] offset:11264
	ds_write_b128 v8, v[4:7] offset:19712
	s_and_saveexec_b32 s5, s0
	s_cbranch_execz .LBB0_19
; %bb.18:
	v_mov_b32_e32 v49, v63
	v_lshlrev_b64 v[0:1], 4, v[48:49]
	v_add_co_u32 v0, s1, s1, v0
	v_add_co_ci_u32_e64 v1, s1, s4, v1, s1
	global_load_dwordx4 v[0:3], v[0:1], off
	ds_read_b128 v[4:7], v88 offset:14080
	ds_read_b128 v[9:12], v8 offset:16896
	s_waitcnt lgkmcnt(0)
	v_add_f64 v[13:14], v[4:5], v[9:10]
	v_add_f64 v[15:16], v[11:12], v[6:7]
	v_add_f64 v[17:18], v[4:5], -v[9:10]
	v_add_f64 v[4:5], v[6:7], -v[11:12]
	s_waitcnt vmcnt(0)
	v_fma_f64 v[6:7], v[17:18], v[2:3], v[13:14]
	v_fma_f64 v[9:10], v[15:16], v[2:3], v[4:5]
	v_fma_f64 v[11:12], -v[17:18], v[2:3], v[13:14]
	v_fma_f64 v[13:14], v[15:16], v[2:3], -v[4:5]
	v_fma_f64 v[2:3], -v[15:16], v[0:1], v[6:7]
	v_fma_f64 v[4:5], v[17:18], v[0:1], v[9:10]
	v_fma_f64 v[9:10], v[15:16], v[0:1], v[11:12]
	;; [unrolled: 1-line block ×3, first 2 shown]
	ds_write_b128 v88, v[2:5] offset:14080
	ds_write_b128 v8, v[9:12] offset:16896
.LBB0_19:
	s_or_b32 exec_lo, exec_lo, s5
	s_waitcnt lgkmcnt(0)
	s_barrier
	buffer_gl0_inv
	s_barrier
	buffer_gl0_inv
	ds_read_b128 v[0:3], v88 offset:15488
	ds_read_b128 v[4:7], v88
	ds_read_b128 v[8:11], v88 offset:2816
	ds_read_b128 v[12:15], v88 offset:18304
	;; [unrolled: 1-line block ×10, first 2 shown]
	v_add_nc_u32_e32 v55, v88, v53
	s_waitcnt lgkmcnt(0)
	s_barrier
	buffer_gl0_inv
	v_add_f64 v[56:57], v[4:5], -v[0:1]
	v_add_f64 v[58:59], v[6:7], -v[2:3]
	v_add_f64 v[63:64], v[8:9], -v[12:13]
	v_add_f64 v[65:66], v[10:11], -v[14:15]
	v_add_f64 v[16:17], v[20:21], -v[16:17]
	v_add_f64 v[18:19], v[22:23], -v[18:19]
	v_add_f64 v[28:29], v[24:25], -v[28:29]
	v_add_f64 v[30:31], v[26:27], -v[30:31]
	v_add_f64 v[32:33], v[36:37], -v[32:33]
	v_add_f64 v[34:35], v[38:39], -v[34:35]
	v_add_f64 v[0:1], v[40:41], -v[44:45]
	v_add_f64 v[2:3], v[42:43], -v[46:47]
	v_fma_f64 v[4:5], v[4:5], 2.0, -v[56:57]
	v_fma_f64 v[6:7], v[6:7], 2.0, -v[58:59]
	;; [unrolled: 1-line block ×12, first 2 shown]
	v_lshl_add_u32 v40, v62, 5, 0
	v_lshl_add_u32 v41, v60, 5, 0
	;; [unrolled: 1-line block ×4, first 2 shown]
	ds_write_b128 v55, v[56:59] offset:16
	ds_write_b128 v40, v[63:66] offset:16
	;; [unrolled: 1-line block ×4, first 2 shown]
	ds_write_b128 v55, v[4:7]
	ds_write_b128 v40, v[8:11]
	;; [unrolled: 1-line block ×5, first 2 shown]
	ds_write_b128 v43, v[32:35] offset:16
	s_and_saveexec_b32 s1, s0
	s_cbranch_execz .LBB0_21
; %bb.20:
	v_lshl_add_u32 v4, v48, 5, 0
	ds_write_b128 v4, v[12:15]
	ds_write_b128 v4, v[0:3] offset:16
.LBB0_21:
	s_or_b32 exec_lo, exec_lo, s1
	s_waitcnt lgkmcnt(0)
	s_barrier
	buffer_gl0_inv
	ds_read_b128 v[4:7], v88
	ds_read_b128 v[16:19], v88 offset:2816
	ds_read_b128 v[8:11], v88 offset:18304
	;; [unrolled: 1-line block ×9, first 2 shown]
	v_lshlrev_b32_e32 v54, 1, v62
	v_lshlrev_b32_e32 v52, 1, v60
	;; [unrolled: 1-line block ×4, first 2 shown]
	s_and_saveexec_b32 s1, s0
	s_cbranch_execz .LBB0_23
; %bb.22:
	v_sub_nc_u32_e32 v0, v55, v53
	ds_read_b128 v[12:15], v0 offset:14080
	ds_read_b128 v[0:3], v88 offset:29568
.LBB0_23:
	s_or_b32 exec_lo, exec_lo, s1
	v_and_b32_e32 v51, 1, v84
	v_lshlrev_b32_e32 v53, 4, v51
	global_load_dwordx4 v[55:58], v53, s[8:9]
	v_lshlrev_b32_e32 v53, 1, v84
	s_waitcnt vmcnt(0) lgkmcnt(0)
	s_barrier
	buffer_gl0_inv
	v_mul_f64 v[63:64], v[46:47], v[57:58]
	v_mul_f64 v[65:66], v[44:45], v[57:58]
	;; [unrolled: 1-line block ×12, first 2 shown]
	v_fma_f64 v[44:45], v[44:45], v[55:56], v[63:64]
	v_fma_f64 v[46:47], v[46:47], v[55:56], -v[65:66]
	v_fma_f64 v[8:9], v[8:9], v[55:56], v[67:68]
	v_fma_f64 v[10:11], v[10:11], v[55:56], -v[69:70]
	;; [unrolled: 2-line block ×6, first 2 shown]
	v_and_or_b32 v57, 0x1fc, v53, v51
	v_and_or_b32 v58, 0x3fc, v54, v51
	v_add_f64 v[32:33], v[4:5], -v[44:45]
	v_add_f64 v[34:35], v[6:7], -v[46:47]
	;; [unrolled: 1-line block ×12, first 2 shown]
	v_fma_f64 v[53:54], v[4:5], 2.0, -v[32:33]
	v_fma_f64 v[55:56], v[6:7], 2.0, -v[34:35]
	;; [unrolled: 1-line block ×12, first 2 shown]
	v_and_or_b32 v28, 0x7fc, v52, v51
	v_and_or_b32 v29, 0x7fc, v50, v51
	;; [unrolled: 1-line block ×3, first 2 shown]
	v_lshl_add_u32 v31, v57, 4, 0
	v_lshl_add_u32 v49, v58, 4, 0
	v_lshl_add_u32 v28, v28, 4, 0
	v_lshl_add_u32 v29, v29, 4, 0
	v_lshl_add_u32 v30, v30, 4, 0
	ds_write_b128 v31, v[32:35] offset:32
	ds_write_b128 v31, v[53:56]
	ds_write_b128 v49, v[16:19]
	ds_write_b128 v49, v[36:39] offset:32
	ds_write_b128 v28, v[24:27]
	ds_write_b128 v28, v[40:43] offset:32
	;; [unrolled: 2-line block ×4, first 2 shown]
	s_and_saveexec_b32 s1, s0
	s_cbranch_execz .LBB0_25
; %bb.24:
	v_lshlrev_b32_e32 v16, 1, v48
	v_and_or_b32 v16, 0x7fc, v16, v51
	v_lshl_add_u32 v16, v16, 4, 0
	ds_write_b128 v16, v[12:15]
	ds_write_b128 v16, v[8:11] offset:32
.LBB0_25:
	s_or_b32 exec_lo, exec_lo, s1
	s_waitcnt lgkmcnt(0)
	s_barrier
	buffer_gl0_inv
	ds_read_b128 v[16:19], v88
	ds_read_b128 v[20:23], v88 offset:2816
	ds_read_b128 v[48:51], v88 offset:7744
	;; [unrolled: 1-line block ×7, first 2 shown]
	v_cmp_gt_u32_e64 s0, 0x84, v84
	s_and_saveexec_b32 s1, s0
	s_cbranch_execz .LBB0_27
; %bb.26:
	ds_read_b128 v[4:7], v88 offset:5632
	ds_read_b128 v[0:3], v88 offset:13376
	;; [unrolled: 1-line block ×4, first 2 shown]
.LBB0_27:
	s_or_b32 exec_lo, exec_lo, s1
	v_and_b32_e32 v61, 3, v84
	v_lshlrev_b32_e32 v62, 2, v62
	v_mul_u32_u24_e32 v24, 3, v61
	v_and_or_b32 v62, 0x7f0, v62, v61
	v_lshlrev_b32_e32 v24, 4, v24
	v_lshl_add_u32 v62, v62, 4, 0
	s_clause 0x2
	global_load_dwordx4 v[32:35], v24, s[8:9] offset:32
	global_load_dwordx4 v[28:31], v24, s[8:9] offset:48
	global_load_dwordx4 v[24:27], v24, s[8:9] offset:64
	s_waitcnt vmcnt(0) lgkmcnt(0)
	s_barrier
	buffer_gl0_inv
	v_mul_f64 v[63:64], v[50:51], v[34:35]
	v_mul_f64 v[65:66], v[48:49], v[34:35]
	;; [unrolled: 1-line block ×12, first 2 shown]
	v_fma_f64 v[48:49], v[48:49], v[32:33], v[63:64]
	v_fma_f64 v[50:51], v[50:51], v[32:33], -v[65:66]
	v_fma_f64 v[52:53], v[52:53], v[28:29], v[67:68]
	v_fma_f64 v[54:55], v[54:55], v[28:29], -v[69:70]
	;; [unrolled: 2-line block ×6, first 2 shown]
	v_add_f64 v[52:53], v[16:17], -v[52:53]
	v_add_f64 v[54:55], v[18:19], -v[54:55]
	;; [unrolled: 1-line block ×8, first 2 shown]
	v_fma_f64 v[67:68], v[16:17], 2.0, -v[52:53]
	v_fma_f64 v[69:70], v[18:19], 2.0, -v[54:55]
	;; [unrolled: 1-line block ×4, first 2 shown]
	v_add_f64 v[16:17], v[52:53], v[58:59]
	v_add_f64 v[18:19], v[54:55], -v[56:57]
	v_fma_f64 v[50:51], v[20:21], 2.0, -v[63:64]
	v_fma_f64 v[71:72], v[22:23], 2.0, -v[65:66]
	;; [unrolled: 1-line block ×4, first 2 shown]
	v_add_f64 v[20:21], v[63:64], v[40:41]
	v_add_f64 v[36:37], v[67:68], -v[42:43]
	v_add_f64 v[38:39], v[69:70], -v[46:47]
	v_fma_f64 v[46:47], v[54:55], 2.0, -v[18:19]
	v_add_f64 v[40:41], v[50:51], -v[22:23]
	v_add_f64 v[42:43], v[71:72], -v[48:49]
	v_add_f64 v[22:23], v[65:66], -v[44:45]
	v_fma_f64 v[44:45], v[52:53], 2.0, -v[16:17]
	v_fma_f64 v[48:49], v[63:64], 2.0, -v[20:21]
	v_lshlrev_b32_e32 v63, 2, v84
	v_and_or_b32 v63, 0x3f0, v63, v61
	v_lshl_add_u32 v63, v63, 4, 0
	v_fma_f64 v[52:53], v[67:68], 2.0, -v[36:37]
	v_fma_f64 v[54:55], v[69:70], 2.0, -v[38:39]
	;; [unrolled: 1-line block ×5, first 2 shown]
	ds_write_b128 v63, v[16:19] offset:192
	ds_write_b128 v63, v[44:47] offset:64
	;; [unrolled: 1-line block ×3, first 2 shown]
	ds_write_b128 v63, v[52:55]
	ds_write_b128 v62, v[56:59]
	ds_write_b128 v62, v[48:51] offset:64
	ds_write_b128 v62, v[40:43] offset:128
	;; [unrolled: 1-line block ×3, first 2 shown]
	s_and_saveexec_b32 s1, s0
	s_cbranch_execz .LBB0_29
; %bb.28:
	v_mul_f64 v[16:17], v[12:13], v[30:31]
	v_mul_f64 v[18:19], v[2:3], v[34:35]
	;; [unrolled: 1-line block ×6, first 2 shown]
	v_fma_f64 v[14:15], v[14:15], v[28:29], -v[16:17]
	v_fma_f64 v[0:1], v[0:1], v[32:33], v[18:19]
	v_fma_f64 v[2:3], v[2:3], v[32:33], -v[20:21]
	v_fma_f64 v[10:11], v[10:11], v[24:25], -v[22:23]
	v_fma_f64 v[12:13], v[12:13], v[28:29], v[30:31]
	v_fma_f64 v[8:9], v[8:9], v[24:25], v[26:27]
	v_add_f64 v[14:15], v[6:7], -v[14:15]
	v_add_f64 v[10:11], v[2:3], -v[10:11]
	;; [unrolled: 1-line block ×4, first 2 shown]
	v_fma_f64 v[16:17], v[6:7], 2.0, -v[14:15]
	v_fma_f64 v[6:7], v[2:3], 2.0, -v[10:11]
	;; [unrolled: 1-line block ×4, first 2 shown]
	v_add_f64 v[2:3], v[14:15], -v[8:9]
	v_add_f64 v[0:1], v[12:13], v[10:11]
	v_add_f64 v[6:7], v[16:17], -v[6:7]
	v_add_f64 v[4:5], v[18:19], -v[4:5]
	v_fma_f64 v[10:11], v[14:15], 2.0, -v[2:3]
	v_fma_f64 v[8:9], v[12:13], 2.0, -v[0:1]
	;; [unrolled: 1-line block ×3, first 2 shown]
	v_lshlrev_b32_e32 v16, 2, v60
	v_fma_f64 v[12:13], v[18:19], 2.0, -v[4:5]
	v_and_or_b32 v16, 0xff0, v16, v61
	v_lshl_add_u32 v16, v16, 4, 0
	ds_write_b128 v16, v[8:11] offset:64
	ds_write_b128 v16, v[4:7] offset:128
	ds_write_b128 v16, v[12:15]
	ds_write_b128 v16, v[0:3] offset:192
.LBB0_29:
	s_or_b32 exec_lo, exec_lo, s1
	v_and_b32_e32 v85, 15, v84
	s_waitcnt lgkmcnt(0)
	s_barrier
	buffer_gl0_inv
	v_lshrrev_b32_e32 v89, 4, v84
	v_mul_u32_u24_e32 v0, 10, v85
	v_mul_u32_u24_e32 v90, 10, v84
	s_mov_b32 s4, 0xf8bb580b
	s_mov_b32 s10, 0x8764f0ba
	v_mul_u32_u24_e32 v89, 0xb0, v89
	v_lshlrev_b32_e32 v0, 4, v0
	v_lshlrev_b32_e32 v95, 4, v90
	s_mov_b32 s5, 0xbfe14ced
	s_mov_b32 s11, 0x3feaeb8c
	v_or_b32_e32 v85, v89, v85
	s_clause 0x9
	global_load_dwordx4 v[4:7], v0, s[8:9] offset:224
	global_load_dwordx4 v[48:51], v0, s[8:9] offset:368
	;; [unrolled: 1-line block ×10, first 2 shown]
	ds_read_b128 v[68:71], v88 offset:28160
	ds_read_b128 v[40:43], v88 offset:5632
	;; [unrolled: 1-line block ×4, first 2 shown]
	ds_read_b128 v[0:3], v88
	ds_read_b128 v[60:63], v88 offset:11264
	ds_read_b128 v[56:59], v88 offset:14080
	;; [unrolled: 1-line block ×6, first 2 shown]
	s_mov_b32 s12, 0x8eee2c13
	s_mov_b32 s16, 0xd9c712b6
	;; [unrolled: 1-line block ×26, first 2 shown]
	v_lshl_add_u32 v85, v85, 4, 0
	s_waitcnt vmcnt(0) lgkmcnt(0)
	s_barrier
	buffer_gl0_inv
	v_mul_f64 v[89:90], v[76:77], v[6:7]
	v_mul_f64 v[91:92], v[68:69], v[50:51]
	;; [unrolled: 1-line block ×4, first 2 shown]
	v_add_co_u32 v6, s0, s8, v95
	v_mul_f64 v[95:96], v[40:41], v[10:11]
	v_mul_f64 v[97:98], v[80:81], v[38:39]
	;; [unrolled: 1-line block ×16, first 2 shown]
	v_fma_f64 v[78:79], v[78:79], v[4:5], -v[89:90]
	v_fma_f64 v[70:71], v[70:71], v[48:49], -v[91:92]
	v_fma_f64 v[4:5], v[76:77], v[4:5], v[93:94]
	v_fma_f64 v[48:49], v[68:69], v[48:49], v[50:51]
	v_add_co_ci_u32_e64 v7, null, s9, 0, s0
	v_fma_f64 v[42:43], v[42:43], v[8:9], -v[95:96]
	v_fma_f64 v[50:51], v[82:83], v[36:37], -v[97:98]
	;; [unrolled: 1-line block ×6, first 2 shown]
	v_fma_f64 v[8:9], v[40:41], v[8:9], v[10:11]
	v_fma_f64 v[10:11], v[80:81], v[36:37], v[38:39]
	;; [unrolled: 1-line block ×7, first 2 shown]
	v_fma_f64 v[16:17], v[58:59], v[16:17], -v[18:19]
	v_fma_f64 v[18:19], v[54:55], v[12:13], -v[109:110]
	v_fma_f64 v[12:13], v[52:53], v[12:13], v[14:15]
	v_add_f64 v[54:55], v[2:3], v[78:79]
	v_add_f64 v[14:15], v[78:79], -v[70:71]
	v_add_f64 v[30:31], v[78:79], v[70:71]
	v_add_f64 v[32:33], v[4:5], v[48:49]
	v_add_f64 v[34:35], v[4:5], -v[48:49]
	v_add_f64 v[4:5], v[0:1], v[4:5]
	v_add_f64 v[36:37], v[42:43], -v[50:51]
	;; [unrolled: 2-line block ×4, first 2 shown]
	v_add_f64 v[74:75], v[62:63], v[66:67]
	v_add_f64 v[56:57], v[8:9], v[10:11]
	v_add_f64 v[58:59], v[8:9], -v[10:11]
	v_add_f64 v[60:61], v[24:25], v[26:27]
	v_add_f64 v[64:65], v[24:25], -v[26:27]
	;; [unrolled: 2-line block ×3, first 2 shown]
	v_add_f64 v[78:79], v[16:17], -v[18:19]
	v_add_f64 v[89:90], v[16:17], v[18:19]
	v_add_f64 v[80:81], v[28:29], v[12:13]
	v_mul_f64 v[91:92], v[14:15], s[4:5]
	v_mul_f64 v[93:94], v[30:31], s[10:11]
	;; [unrolled: 1-line block ×4, first 2 shown]
	v_add_f64 v[4:5], v[4:5], v[8:9]
	v_add_f64 v[8:9], v[54:55], v[42:43]
	v_mul_f64 v[99:100], v[14:15], s[18:19]
	v_mul_f64 v[101:102], v[30:31], s[22:23]
	;; [unrolled: 1-line block ×8, first 2 shown]
	v_add_f64 v[82:83], v[28:29], -v[12:13]
	v_mul_f64 v[111:112], v[40:41], s[18:19]
	v_mul_f64 v[113:114], v[44:45], s[22:23]
	;; [unrolled: 1-line block ×7, first 2 shown]
	v_fma_f64 v[167:168], v[32:33], s[10:11], v[91:92]
	v_fma_f64 v[169:170], v[34:35], s[6:7], v[93:94]
	v_mul_f64 v[119:120], v[38:39], s[26:27]
	v_mul_f64 v[121:122], v[38:39], s[34:35]
	v_add_f64 v[4:5], v[4:5], v[24:25]
	v_add_f64 v[8:9], v[8:9], v[46:47]
	v_mul_f64 v[123:124], v[38:39], s[22:23]
	v_mul_f64 v[38:39], v[38:39], s[10:11]
	;; [unrolled: 1-line block ×20, first 2 shown]
	v_add_f64 v[4:5], v[4:5], v[20:21]
	v_add_f64 v[8:9], v[8:9], v[62:63]
	v_mul_f64 v[153:154], v[78:79], s[6:7]
	v_mul_f64 v[155:156], v[78:79], s[24:25]
	v_mul_f64 v[157:158], v[78:79], s[14:15]
	v_mul_f64 v[78:79], v[78:79], s[18:19]
	v_mul_f64 v[159:160], v[89:90], s[34:35]
	v_mul_f64 v[161:162], v[89:90], s[10:11]
	v_mul_f64 v[163:164], v[89:90], s[26:27]
	v_mul_f64 v[165:166], v[89:90], s[16:17]
	v_mul_f64 v[89:90], v[89:90], s[22:23]
	v_fma_f64 v[91:92], v[32:33], s[10:11], -v[91:92]
	v_fma_f64 v[93:94], v[34:35], s[4:5], v[93:94]
	v_fma_f64 v[171:172], v[32:33], s[16:17], v[95:96]
	v_fma_f64 v[173:174], v[34:35], s[14:15], v[97:98]
	v_fma_f64 v[95:96], v[32:33], s[16:17], -v[95:96]
	v_fma_f64 v[175:176], v[32:33], s[22:23], v[99:100]
	v_fma_f64 v[177:178], v[34:35], s[20:21], v[101:102]
	v_fma_f64 v[99:100], v[32:33], s[22:23], -v[99:100]
	v_fma_f64 v[179:180], v[32:33], s[26:27], v[103:104]
	v_fma_f64 v[181:182], v[34:35], s[28:29], v[105:106]
	;; [unrolled: 1-line block ×4, first 2 shown]
	v_fma_f64 v[103:104], v[32:33], s[26:27], -v[103:104]
	v_fma_f64 v[14:15], v[32:33], s[34:35], -v[14:15]
	v_fma_f64 v[30:31], v[34:35], s[30:31], v[30:31]
	v_fma_f64 v[105:106], v[34:35], s[24:25], v[105:106]
	;; [unrolled: 1-line block ×4, first 2 shown]
	v_add_f64 v[4:5], v[4:5], v[28:29]
	v_add_f64 v[8:9], v[8:9], v[16:17]
	v_fma_f64 v[32:33], v[56:57], s[16:17], v[107:108]
	v_fma_f64 v[34:35], v[58:59], s[14:15], v[109:110]
	v_add_f64 v[16:17], v[0:1], v[167:168]
	v_add_f64 v[28:29], v[2:3], v[169:170]
	v_fma_f64 v[187:188], v[60:61], s[22:23], v[111:112]
	v_fma_f64 v[189:190], v[64:65], s[20:21], v[113:114]
	v_fma_f64 v[191:192], v[72:73], s[26:27], v[115:116]
	v_fma_f64 v[24:25], v[56:57], s[16:17], -v[107:108]
	v_fma_f64 v[46:47], v[56:57], s[26:27], v[42:43]
	v_fma_f64 v[42:43], v[56:57], s[26:27], -v[42:43]
	v_fma_f64 v[107:108], v[56:57], s[34:35], v[54:55]
	v_fma_f64 v[54:55], v[56:57], s[34:35], -v[54:55]
	v_fma_f64 v[193:194], v[56:57], s[22:23], v[117:118]
	v_fma_f64 v[117:118], v[56:57], s[22:23], -v[117:118]
	v_fma_f64 v[195:196], v[56:57], s[10:11], v[36:37]
	v_fma_f64 v[36:37], v[56:57], s[10:11], -v[36:37]
	v_fma_f64 v[56:57], v[58:59], s[12:13], v[109:110]
	v_fma_f64 v[109:110], v[58:59], s[28:29], v[119:120]
	v_fma_f64 v[119:120], v[58:59], s[24:25], v[119:120]
	v_fma_f64 v[197:198], v[58:59], s[30:31], v[121:122]
	v_fma_f64 v[121:122], v[58:59], s[36:37], v[121:122]
	v_fma_f64 v[199:200], v[58:59], s[18:19], v[123:124]
	v_fma_f64 v[123:124], v[58:59], s[20:21], v[123:124]
	v_fma_f64 v[201:202], v[58:59], s[4:5], v[38:39]
	v_fma_f64 v[38:39], v[58:59], s[6:7], v[38:39]
	v_fma_f64 v[58:59], v[60:61], s[22:23], -v[111:112]
	v_fma_f64 v[111:112], v[60:61], s[34:35], v[125:126]
	v_fma_f64 v[125:126], v[60:61], s[34:35], -v[125:126]
	v_fma_f64 v[203:204], v[60:61], s[16:17], v[127:128]
	v_fma_f64 v[127:128], v[60:61], s[16:17], -v[127:128]
	v_fma_f64 v[205:206], v[60:61], s[10:11], v[129:130]
	v_fma_f64 v[129:130], v[60:61], s[10:11], -v[129:130]
	v_fma_f64 v[207:208], v[60:61], s[26:27], v[40:41]
	v_fma_f64 v[40:41], v[60:61], s[26:27], -v[40:41]
	v_fma_f64 v[60:61], v[64:65], s[18:19], v[113:114]
	v_fma_f64 v[113:114], v[64:65], s[30:31], v[131:132]
	v_fma_f64 v[131:132], v[64:65], s[36:37], v[131:132]
	v_fma_f64 v[209:210], v[64:65], s[12:13], v[133:134]
	v_fma_f64 v[133:134], v[64:65], s[14:15], v[133:134]
	v_fma_f64 v[211:212], v[64:65], s[6:7], v[135:136]
	;; [unrolled: 18-line block ×3, first 2 shown]
	v_fma_f64 v[225:226], v[76:77], s[36:37], v[149:150]
	v_fma_f64 v[149:150], v[76:77], s[30:31], v[149:150]
	;; [unrolled: 1-line block ×5, first 2 shown]
	v_fma_f64 v[62:63], v[80:81], s[34:35], -v[151:152]
	v_fma_f64 v[76:77], v[80:81], s[10:11], v[153:154]
	v_fma_f64 v[151:152], v[80:81], s[10:11], -v[153:154]
	v_fma_f64 v[153:154], v[80:81], s[26:27], v[155:156]
	;; [unrolled: 2-line block ×5, first 2 shown]
	v_fma_f64 v[159:160], v[82:83], s[30:31], v[159:160]
	v_fma_f64 v[233:234], v[82:83], s[4:5], v[161:162]
	;; [unrolled: 1-line block ×9, first 2 shown]
	v_add_f64 v[89:90], v[0:1], v[91:92]
	v_add_f64 v[91:92], v[2:3], v[93:94]
	;; [unrolled: 1-line block ×108, first 2 shown]
	v_add_co_u32 v4, s0, 0x800, v6
	v_add_co_ci_u32_e64 v5, s0, 0, v7, s0
	v_add_co_u32 v48, s0, 0xb60, v6
	v_add_co_ci_u32_e64 v49, s0, 0, v7, s0
	v_add_co_u32 v50, s0, 0xae0, v6
	v_add_co_ci_u32_e64 v51, s0, 0, v7, s0
	ds_write_b128 v85, v[0:3] offset:256
	ds_write_b128 v85, v[12:15] offset:512
	;; [unrolled: 1-line block ×10, first 2 shown]
	ds_write_b128 v85, v[44:47]
	s_waitcnt lgkmcnt(0)
	s_barrier
	buffer_gl0_inv
	s_clause 0x3
	global_load_dwordx4 v[8:11], v[4:5], off offset:736
	global_load_dwordx4 v[12:15], v[48:49], off offset:16
	;; [unrolled: 1-line block ×4, first 2 shown]
	v_add_co_u32 v0, s0, 0xb20, v6
	v_add_co_ci_u32_e64 v1, s0, 0, v7, s0
	s_clause 0x5
	global_load_dwordx4 v[24:27], v[50:51], off offset:32
	global_load_dwordx4 v[28:31], v[0:1], off offset:48
	;; [unrolled: 1-line block ×6, first 2 shown]
	ds_read_b128 v[32:35], v88 offset:2816
	ds_read_b128 v[40:43], v88 offset:28160
	;; [unrolled: 1-line block ×10, first 2 shown]
	ds_read_b128 v[0:3], v88
	s_waitcnt vmcnt(0) lgkmcnt(0)
	s_barrier
	buffer_gl0_inv
	v_mul_f64 v[4:5], v[32:33], v[10:11]
	v_mul_f64 v[10:11], v[34:35], v[10:11]
	;; [unrolled: 1-line block ×20, first 2 shown]
	v_fma_f64 v[109:110], v[34:35], v[8:9], -v[4:5]
	v_fma_f64 v[111:112], v[32:33], v[8:9], v[10:11]
	v_fma_f64 v[4:5], v[42:43], v[12:13], -v[6:7]
	v_fma_f64 v[6:7], v[40:41], v[12:13], v[14:15]
	v_fma_f64 v[40:41], v[58:59], v[16:17], -v[93:94]
	v_fma_f64 v[8:9], v[62:63], v[20:21], -v[95:96]
	v_fma_f64 v[42:43], v[56:57], v[16:17], v[18:19]
	v_fma_f64 v[10:11], v[60:61], v[20:21], v[22:23]
	;; [unrolled: 1-line block ×3, first 2 shown]
	v_fma_f64 v[34:35], v[66:67], v[24:25], -v[26:27]
	v_fma_f64 v[24:25], v[80:81], v[48:49], v[105:106]
	v_fma_f64 v[26:27], v[82:83], v[48:49], -v[50:51]
	v_fma_f64 v[20:21], v[91:92], v[52:53], -v[107:108]
	v_fma_f64 v[22:23], v[89:90], v[52:53], v[54:55]
	v_fma_f64 v[12:13], v[70:71], v[28:29], -v[99:100]
	v_fma_f64 v[14:15], v[68:69], v[28:29], v[30:31]
	;; [unrolled: 2-line block ×3, first 2 shown]
	v_fma_f64 v[28:29], v[72:73], v[36:37], v[101:102]
	v_fma_f64 v[30:31], v[74:75], v[36:37], -v[38:39]
	v_add_f64 v[52:53], v[2:3], v[109:110]
	v_add_f64 v[50:51], v[0:1], v[111:112]
	v_add_f64 v[46:47], v[109:110], -v[4:5]
	v_add_f64 v[44:45], v[109:110], v[4:5]
	v_add_f64 v[38:39], v[111:112], v[6:7]
	v_add_f64 v[48:49], v[40:41], -v[8:9]
	;; [unrolled: 3-line block ×3, first 2 shown]
	v_add_f64 v[36:37], v[111:112], -v[6:7]
	v_add_f64 v[76:77], v[26:27], -v[20:21]
	v_add_f64 v[80:81], v[26:27], v[20:21]
	v_add_f64 v[60:61], v[34:35], -v[12:13]
	v_add_f64 v[62:63], v[32:33], v[14:15]
	v_add_f64 v[64:65], v[34:35], v[12:13]
	v_add_f64 v[66:67], v[32:33], -v[14:15]
	v_add_f64 v[70:71], v[28:29], v[18:19]
	v_add_f64 v[68:69], v[30:31], -v[16:17]
	;; [unrolled: 2-line block ×3, first 2 shown]
	v_add_f64 v[40:41], v[52:53], v[40:41]
	v_add_f64 v[42:43], v[50:51], v[42:43]
	v_mul_f64 v[89:90], v[46:47], s[4:5]
	v_mul_f64 v[91:92], v[44:45], s[10:11]
	;; [unrolled: 1-line block ×16, first 2 shown]
	v_add_f64 v[78:79], v[24:25], v[22:23]
	v_add_f64 v[82:83], v[24:25], -v[22:23]
	v_mul_f64 v[52:53], v[56:57], s[26:27]
	v_mul_f64 v[113:114], v[56:57], s[34:35]
	v_add_f64 v[34:35], v[40:41], v[34:35]
	v_add_f64 v[32:33], v[42:43], v[32:33]
	v_fma_f64 v[165:166], v[38:39], s[10:11], v[89:90]
	v_fma_f64 v[167:168], v[36:37], s[6:7], v[91:92]
	v_mul_f64 v[115:116], v[56:57], s[22:23]
	v_mul_f64 v[56:57], v[56:57], s[10:11]
	v_mul_f64 v[117:118], v[60:61], s[18:19]
	v_mul_f64 v[119:120], v[60:61], s[36:37]
	v_mul_f64 v[121:122], v[60:61], s[14:15]
	v_mul_f64 v[123:124], v[60:61], s[4:5]
	v_mul_f64 v[60:61], v[60:61], s[24:25]
	v_mul_f64 v[125:126], v[64:65], s[22:23]
	v_mul_f64 v[127:128], v[64:65], s[34:35]
	v_mul_f64 v[129:130], v[64:65], s[16:17]
	v_mul_f64 v[131:132], v[64:65], s[10:11]
	v_mul_f64 v[64:65], v[64:65], s[26:27]
	v_mul_f64 v[133:134], v[68:69], s[24:25]
	v_mul_f64 v[135:136], v[68:69], s[20:21]
	v_mul_f64 v[137:138], v[68:69], s[4:5]
	v_mul_f64 v[139:140], v[68:69], s[30:31]
	v_mul_f64 v[68:69], v[68:69], s[14:15]
	v_mul_f64 v[141:142], v[72:73], s[26:27]
	v_add_f64 v[30:31], v[34:35], v[30:31]
	v_add_f64 v[28:29], v[32:33], v[28:29]
	v_mul_f64 v[143:144], v[72:73], s[22:23]
	v_mul_f64 v[145:146], v[72:73], s[10:11]
	;; [unrolled: 1-line block ×14, first 2 shown]
	v_fma_f64 v[89:90], v[38:39], s[10:11], -v[89:90]
	v_fma_f64 v[91:92], v[36:37], s[4:5], v[91:92]
	v_fma_f64 v[169:170], v[38:39], s[16:17], v[93:94]
	;; [unrolled: 1-line block ×3, first 2 shown]
	v_fma_f64 v[93:94], v[38:39], s[16:17], -v[93:94]
	v_fma_f64 v[173:174], v[38:39], s[22:23], v[97:98]
	v_fma_f64 v[175:176], v[36:37], s[20:21], v[99:100]
	v_fma_f64 v[97:98], v[38:39], s[22:23], -v[97:98]
	v_fma_f64 v[177:178], v[38:39], s[26:27], v[101:102]
	v_fma_f64 v[179:180], v[36:37], s[28:29], v[103:104]
	v_fma_f64 v[101:102], v[38:39], s[26:27], -v[101:102]
	v_fma_f64 v[181:182], v[38:39], s[34:35], v[46:47]
	v_fma_f64 v[38:39], v[38:39], s[34:35], -v[46:47]
	v_fma_f64 v[46:47], v[36:37], s[36:37], v[44:45]
	v_fma_f64 v[95:96], v[36:37], s[12:13], v[95:96]
	;; [unrolled: 1-line block ×5, first 2 shown]
	v_add_f64 v[24:25], v[28:29], v[24:25]
	v_add_f64 v[26:27], v[30:31], v[26:27]
	v_fma_f64 v[44:45], v[54:55], s[16:17], v[105:106]
	v_fma_f64 v[105:106], v[54:55], s[16:17], -v[105:106]
	v_fma_f64 v[183:184], v[54:55], s[26:27], v[107:108]
	v_fma_f64 v[107:108], v[54:55], s[26:27], -v[107:108]
	;; [unrolled: 2-line block ×5, first 2 shown]
	v_fma_f64 v[54:55], v[58:59], s[14:15], v[50:51]
	v_add_f64 v[28:29], v[0:1], v[165:166]
	v_add_f64 v[30:31], v[2:3], v[167:168]
	v_fma_f64 v[50:51], v[58:59], s[12:13], v[50:51]
	v_fma_f64 v[191:192], v[58:59], s[28:29], v[52:53]
	v_fma_f64 v[52:53], v[58:59], s[24:25], v[52:53]
	v_fma_f64 v[193:194], v[58:59], s[30:31], v[113:114]
	v_fma_f64 v[113:114], v[58:59], s[36:37], v[113:114]
	v_fma_f64 v[195:196], v[58:59], s[18:19], v[115:116]
	v_fma_f64 v[115:116], v[58:59], s[20:21], v[115:116]
	v_fma_f64 v[197:198], v[58:59], s[4:5], v[56:57]
	v_fma_f64 v[56:57], v[58:59], s[6:7], v[56:57]
	v_fma_f64 v[58:59], v[62:63], s[22:23], v[117:118]
	v_fma_f64 v[117:118], v[62:63], s[22:23], -v[117:118]
	v_fma_f64 v[199:200], v[62:63], s[34:35], v[119:120]
	v_fma_f64 v[119:120], v[62:63], s[34:35], -v[119:120]
	v_fma_f64 v[201:202], v[62:63], s[16:17], v[121:122]
	v_fma_f64 v[121:122], v[62:63], s[16:17], -v[121:122]
	v_fma_f64 v[203:204], v[62:63], s[10:11], v[123:124]
	v_fma_f64 v[123:124], v[62:63], s[10:11], -v[123:124]
	v_fma_f64 v[205:206], v[62:63], s[26:27], v[60:61]
	v_fma_f64 v[60:61], v[62:63], s[26:27], -v[60:61]
	v_fma_f64 v[40:41], v[66:67], s[20:21], v[125:126]
	v_fma_f64 v[42:43], v[66:67], s[18:19], v[125:126]
	v_fma_f64 v[62:63], v[66:67], s[30:31], v[127:128]
	v_fma_f64 v[125:126], v[66:67], s[36:37], v[127:128]
	v_fma_f64 v[127:128], v[66:67], s[12:13], v[129:130]
	v_fma_f64 v[129:130], v[66:67], s[14:15], v[129:130]
	v_fma_f64 v[207:208], v[66:67], s[6:7], v[131:132]
	v_fma_f64 v[131:132], v[66:67], s[4:5], v[131:132]
	v_fma_f64 v[209:210], v[66:67], s[28:29], v[64:65]
	v_fma_f64 v[64:65], v[66:67], s[24:25], v[64:65]
	v_fma_f64 v[66:67], v[70:71], s[26:27], v[133:134]
	v_fma_f64 v[133:134], v[70:71], s[26:27], -v[133:134]
	v_fma_f64 v[211:212], v[70:71], s[22:23], v[135:136]
	v_fma_f64 v[135:136], v[70:71], s[22:23], -v[135:136]
	v_fma_f64 v[213:214], v[70:71], s[10:11], v[137:138]
	v_fma_f64 v[137:138], v[70:71], s[10:11], -v[137:138]
	v_fma_f64 v[215:216], v[70:71], s[34:35], v[139:140]
	v_fma_f64 v[139:140], v[70:71], s[34:35], -v[139:140]
	v_fma_f64 v[217:218], v[70:71], s[16:17], v[68:69]
	v_fma_f64 v[68:69], v[70:71], s[16:17], -v[68:69]
	v_fma_f64 v[70:71], v[74:75], s[28:29], v[141:142]
	;; [unrolled: 20-line block ×3, first 2 shown]
	v_fma_f64 v[157:158], v[82:83], s[30:31], v[157:158]
	v_fma_f64 v[231:232], v[82:83], s[4:5], v[159:160]
	;; [unrolled: 1-line block ×9, first 2 shown]
	v_add_f64 v[82:83], v[0:1], v[89:90]
	v_add_f64 v[89:90], v[2:3], v[91:92]
	;; [unrolled: 1-line block ×108, first 2 shown]
	ds_write_b128 v88, v[0:3] offset:2816
	ds_write_b128 v88, v[12:15] offset:5632
	;; [unrolled: 1-line block ×10, first 2 shown]
	ds_write_b128 v88, v[44:47]
	s_waitcnt lgkmcnt(0)
	s_barrier
	buffer_gl0_inv
	s_and_saveexec_b32 s0, vcc_lo
	s_cbranch_execz .LBB0_31
; %bb.30:
	v_lshl_add_u32 v28, v84, 4, 0
	v_mov_b32_e32 v85, 0
	v_add_nc_u32_e32 v8, 0xb0, v84
	v_add_co_u32 v30, vcc_lo, s2, v86
	ds_read_b128 v[0:3], v28
	ds_read_b128 v[4:7], v28 offset:2816
	v_mov_b32_e32 v9, v85
	v_lshlrev_b64 v[10:11], 4, v[84:85]
	v_add_co_ci_u32_e32 v31, vcc_lo, s3, v87, vcc_lo
	v_add_nc_u32_e32 v12, 0x160, v84
	v_lshlrev_b64 v[8:9], 4, v[8:9]
	v_mov_b32_e32 v13, v85
	v_add_co_u32 v10, vcc_lo, v30, v10
	v_add_co_ci_u32_e32 v11, vcc_lo, v31, v11, vcc_lo
	v_add_co_u32 v8, vcc_lo, v30, v8
	v_add_co_ci_u32_e32 v9, vcc_lo, v31, v9, vcc_lo
	v_lshlrev_b64 v[12:13], 4, v[12:13]
	v_add_nc_u32_e32 v14, 0x210, v84
	v_mov_b32_e32 v15, v85
	v_add_nc_u32_e32 v22, 0x370, v84
	s_waitcnt lgkmcnt(1)
	global_store_dwordx4 v[10:11], v[0:3], off
	s_waitcnt lgkmcnt(0)
	global_store_dwordx4 v[8:9], v[4:7], off
	v_add_nc_u32_e32 v8, 0x2c0, v84
	v_mov_b32_e32 v9, v85
	ds_read_b128 v[0:3], v28 offset:5632
	ds_read_b128 v[4:7], v28 offset:8448
	v_add_co_u32 v16, vcc_lo, v30, v12
	v_add_co_ci_u32_e32 v17, vcc_lo, v31, v13, vcc_lo
	v_lshlrev_b64 v[18:19], 4, v[14:15]
	v_lshlrev_b64 v[20:21], 4, v[8:9]
	ds_read_b128 v[8:11], v28 offset:11264
	ds_read_b128 v[12:15], v28 offset:14080
	v_mov_b32_e32 v23, v85
	v_add_nc_u32_e32 v24, 0x420, v84
	v_mov_b32_e32 v25, v85
	v_add_co_u32 v18, vcc_lo, v30, v18
	v_lshlrev_b64 v[22:23], 4, v[22:23]
	v_add_co_ci_u32_e32 v19, vcc_lo, v31, v19, vcc_lo
	v_add_co_u32 v20, vcc_lo, v30, v20
	v_add_co_ci_u32_e32 v21, vcc_lo, v31, v21, vcc_lo
	v_add_co_u32 v22, vcc_lo, v30, v22
	s_waitcnt lgkmcnt(3)
	global_store_dwordx4 v[16:17], v[0:3], off
	s_waitcnt lgkmcnt(2)
	global_store_dwordx4 v[18:19], v[4:7], off
	v_add_nc_u32_e32 v2, 0x4d0, v84
	v_mov_b32_e32 v3, v85
	v_add_co_ci_u32_e32 v23, vcc_lo, v31, v23, vcc_lo
	v_lshlrev_b64 v[0:1], 4, v[24:25]
	s_waitcnt lgkmcnt(1)
	global_store_dwordx4 v[20:21], v[8:11], off
	s_waitcnt lgkmcnt(0)
	global_store_dwordx4 v[22:23], v[12:15], off
	v_lshlrev_b64 v[8:9], 4, v[2:3]
	v_add_nc_u32_e32 v10, 0x580, v84
	v_mov_b32_e32 v11, v85
	v_add_co_u32 v20, vcc_lo, v30, v0
	v_add_co_ci_u32_e32 v21, vcc_lo, v31, v1, vcc_lo
	v_add_co_u32 v22, vcc_lo, v30, v8
	ds_read_b128 v[0:3], v28 offset:16896
	ds_read_b128 v[4:7], v28 offset:19712
	v_add_co_ci_u32_e32 v23, vcc_lo, v31, v9, vcc_lo
	v_lshlrev_b64 v[26:27], 4, v[10:11]
	ds_read_b128 v[8:11], v28 offset:22528
	ds_read_b128 v[12:15], v28 offset:25344
	;; [unrolled: 1-line block ×3, first 2 shown]
	v_add_nc_u32_e32 v24, 0x630, v84
	v_add_nc_u32_e32 v84, 0x6e0, v84
	v_add_co_u32 v26, vcc_lo, v30, v26
	v_lshlrev_b64 v[24:25], 4, v[24:25]
	v_lshlrev_b64 v[28:29], 4, v[84:85]
	v_add_co_ci_u32_e32 v27, vcc_lo, v31, v27, vcc_lo
	v_add_co_u32 v24, vcc_lo, v30, v24
	v_add_co_ci_u32_e32 v25, vcc_lo, v31, v25, vcc_lo
	v_add_co_u32 v28, vcc_lo, v30, v28
	v_add_co_ci_u32_e32 v29, vcc_lo, v31, v29, vcc_lo
	s_waitcnt lgkmcnt(4)
	global_store_dwordx4 v[20:21], v[0:3], off
	s_waitcnt lgkmcnt(3)
	global_store_dwordx4 v[22:23], v[4:7], off
	;; [unrolled: 2-line block ×5, first 2 shown]
.LBB0_31:
	s_endpgm
	.section	.rodata,"a",@progbits
	.p2align	6, 0x0
	.amdhsa_kernel fft_rtc_back_len1936_factors_2_2_4_11_11_wgs_176_tpt_176_dp_ip_CI_unitstride_sbrr_C2R_dirReg
		.amdhsa_group_segment_fixed_size 0
		.amdhsa_private_segment_fixed_size 0
		.amdhsa_kernarg_size 88
		.amdhsa_user_sgpr_count 6
		.amdhsa_user_sgpr_private_segment_buffer 1
		.amdhsa_user_sgpr_dispatch_ptr 0
		.amdhsa_user_sgpr_queue_ptr 0
		.amdhsa_user_sgpr_kernarg_segment_ptr 1
		.amdhsa_user_sgpr_dispatch_id 0
		.amdhsa_user_sgpr_flat_scratch_init 0
		.amdhsa_user_sgpr_private_segment_size 0
		.amdhsa_wavefront_size32 1
		.amdhsa_uses_dynamic_stack 0
		.amdhsa_system_sgpr_private_segment_wavefront_offset 0
		.amdhsa_system_sgpr_workgroup_id_x 1
		.amdhsa_system_sgpr_workgroup_id_y 0
		.amdhsa_system_sgpr_workgroup_id_z 0
		.amdhsa_system_sgpr_workgroup_info 0
		.amdhsa_system_vgpr_workitem_id 0
		.amdhsa_next_free_vgpr 241
		.amdhsa_next_free_sgpr 38
		.amdhsa_reserve_vcc 1
		.amdhsa_reserve_flat_scratch 0
		.amdhsa_float_round_mode_32 0
		.amdhsa_float_round_mode_16_64 0
		.amdhsa_float_denorm_mode_32 3
		.amdhsa_float_denorm_mode_16_64 3
		.amdhsa_dx10_clamp 1
		.amdhsa_ieee_mode 1
		.amdhsa_fp16_overflow 0
		.amdhsa_workgroup_processor_mode 1
		.amdhsa_memory_ordered 1
		.amdhsa_forward_progress 0
		.amdhsa_shared_vgpr_count 0
		.amdhsa_exception_fp_ieee_invalid_op 0
		.amdhsa_exception_fp_denorm_src 0
		.amdhsa_exception_fp_ieee_div_zero 0
		.amdhsa_exception_fp_ieee_overflow 0
		.amdhsa_exception_fp_ieee_underflow 0
		.amdhsa_exception_fp_ieee_inexact 0
		.amdhsa_exception_int_div_zero 0
	.end_amdhsa_kernel
	.text
.Lfunc_end0:
	.size	fft_rtc_back_len1936_factors_2_2_4_11_11_wgs_176_tpt_176_dp_ip_CI_unitstride_sbrr_C2R_dirReg, .Lfunc_end0-fft_rtc_back_len1936_factors_2_2_4_11_11_wgs_176_tpt_176_dp_ip_CI_unitstride_sbrr_C2R_dirReg
                                        ; -- End function
	.section	.AMDGPU.csdata,"",@progbits
; Kernel info:
; codeLenInByte = 12092
; NumSgprs: 40
; NumVgprs: 241
; ScratchSize: 0
; MemoryBound: 0
; FloatMode: 240
; IeeeMode: 1
; LDSByteSize: 0 bytes/workgroup (compile time only)
; SGPRBlocks: 4
; VGPRBlocks: 30
; NumSGPRsForWavesPerEU: 40
; NumVGPRsForWavesPerEU: 241
; Occupancy: 4
; WaveLimiterHint : 1
; COMPUTE_PGM_RSRC2:SCRATCH_EN: 0
; COMPUTE_PGM_RSRC2:USER_SGPR: 6
; COMPUTE_PGM_RSRC2:TRAP_HANDLER: 0
; COMPUTE_PGM_RSRC2:TGID_X_EN: 1
; COMPUTE_PGM_RSRC2:TGID_Y_EN: 0
; COMPUTE_PGM_RSRC2:TGID_Z_EN: 0
; COMPUTE_PGM_RSRC2:TIDIG_COMP_CNT: 0
	.text
	.p2alignl 6, 3214868480
	.fill 48, 4, 3214868480
	.type	__hip_cuid_be10904363152e7f,@object ; @__hip_cuid_be10904363152e7f
	.section	.bss,"aw",@nobits
	.globl	__hip_cuid_be10904363152e7f
__hip_cuid_be10904363152e7f:
	.byte	0                               ; 0x0
	.size	__hip_cuid_be10904363152e7f, 1

	.ident	"AMD clang version 19.0.0git (https://github.com/RadeonOpenCompute/llvm-project roc-6.4.0 25133 c7fe45cf4b819c5991fe208aaa96edf142730f1d)"
	.section	".note.GNU-stack","",@progbits
	.addrsig
	.addrsig_sym __hip_cuid_be10904363152e7f
	.amdgpu_metadata
---
amdhsa.kernels:
  - .args:
      - .actual_access:  read_only
        .address_space:  global
        .offset:         0
        .size:           8
        .value_kind:     global_buffer
      - .offset:         8
        .size:           8
        .value_kind:     by_value
      - .actual_access:  read_only
        .address_space:  global
        .offset:         16
        .size:           8
        .value_kind:     global_buffer
      - .actual_access:  read_only
        .address_space:  global
        .offset:         24
        .size:           8
        .value_kind:     global_buffer
      - .offset:         32
        .size:           8
        .value_kind:     by_value
      - .actual_access:  read_only
        .address_space:  global
        .offset:         40
        .size:           8
        .value_kind:     global_buffer
      - .actual_access:  read_only
        .address_space:  global
        .offset:         48
        .size:           8
        .value_kind:     global_buffer
      - .offset:         56
        .size:           4
        .value_kind:     by_value
      - .actual_access:  read_only
        .address_space:  global
        .offset:         64
        .size:           8
        .value_kind:     global_buffer
      - .actual_access:  read_only
        .address_space:  global
        .offset:         72
        .size:           8
        .value_kind:     global_buffer
      - .address_space:  global
        .offset:         80
        .size:           8
        .value_kind:     global_buffer
    .group_segment_fixed_size: 0
    .kernarg_segment_align: 8
    .kernarg_segment_size: 88
    .language:       OpenCL C
    .language_version:
      - 2
      - 0
    .max_flat_workgroup_size: 176
    .name:           fft_rtc_back_len1936_factors_2_2_4_11_11_wgs_176_tpt_176_dp_ip_CI_unitstride_sbrr_C2R_dirReg
    .private_segment_fixed_size: 0
    .sgpr_count:     40
    .sgpr_spill_count: 0
    .symbol:         fft_rtc_back_len1936_factors_2_2_4_11_11_wgs_176_tpt_176_dp_ip_CI_unitstride_sbrr_C2R_dirReg.kd
    .uniform_work_group_size: 1
    .uses_dynamic_stack: false
    .vgpr_count:     241
    .vgpr_spill_count: 0
    .wavefront_size: 32
    .workgroup_processor_mode: 1
amdhsa.target:   amdgcn-amd-amdhsa--gfx1030
amdhsa.version:
  - 1
  - 2
...

	.end_amdgpu_metadata
